;; amdgpu-corpus repo=ROCm/rocFFT kind=compiled arch=gfx1201 opt=O3
	.text
	.amdgcn_target "amdgcn-amd-amdhsa--gfx1201"
	.amdhsa_code_object_version 6
	.protected	fft_rtc_back_len1040_factors_13_16_5_wgs_208_tpt_208_halfLds_dp_op_CI_CI_unitstride_sbrr_R2C_dirReg ; -- Begin function fft_rtc_back_len1040_factors_13_16_5_wgs_208_tpt_208_halfLds_dp_op_CI_CI_unitstride_sbrr_R2C_dirReg
	.globl	fft_rtc_back_len1040_factors_13_16_5_wgs_208_tpt_208_halfLds_dp_op_CI_CI_unitstride_sbrr_R2C_dirReg
	.p2align	8
	.type	fft_rtc_back_len1040_factors_13_16_5_wgs_208_tpt_208_halfLds_dp_op_CI_CI_unitstride_sbrr_R2C_dirReg,@function
fft_rtc_back_len1040_factors_13_16_5_wgs_208_tpt_208_halfLds_dp_op_CI_CI_unitstride_sbrr_R2C_dirReg: ; @fft_rtc_back_len1040_factors_13_16_5_wgs_208_tpt_208_halfLds_dp_op_CI_CI_unitstride_sbrr_R2C_dirReg
; %bb.0:
	s_clause 0x2
	s_load_b128 s[8:11], s[0:1], 0x0
	s_load_b128 s[4:7], s[0:1], 0x58
	;; [unrolled: 1-line block ×3, first 2 shown]
	v_mul_u32_u24_e32 v1, 0x13c, v0
	v_mov_b32_e32 v3, 0
	s_delay_alu instid0(VALU_DEP_2) | instskip(NEXT) | instid1(VALU_DEP_1)
	v_lshrrev_b32_e32 v1, 16, v1
	v_add_nc_u32_e32 v5, ttmp9, v1
	v_mov_b32_e32 v1, 0
	v_mov_b32_e32 v2, 0
	;; [unrolled: 1-line block ×3, first 2 shown]
	s_wait_kmcnt 0x0
	v_cmp_lt_u64_e64 s2, s[10:11], 2
	s_delay_alu instid0(VALU_DEP_1)
	s_and_b32 vcc_lo, exec_lo, s2
	s_cbranch_vccnz .LBB0_8
; %bb.1:
	s_load_b64 s[2:3], s[0:1], 0x10
	v_mov_b32_e32 v1, 0
	v_mov_b32_e32 v2, 0
	s_add_nc_u64 s[16:17], s[14:15], 8
	s_add_nc_u64 s[18:19], s[12:13], 8
	s_mov_b64 s[20:21], 1
	s_delay_alu instid0(VALU_DEP_1)
	v_dual_mov_b32 v65, v2 :: v_dual_mov_b32 v64, v1
	s_wait_kmcnt 0x0
	s_add_nc_u64 s[22:23], s[2:3], 8
	s_mov_b32 s3, 0
.LBB0_2:                                ; =>This Inner Loop Header: Depth=1
	s_load_b64 s[24:25], s[22:23], 0x0
                                        ; implicit-def: $vgpr66_vgpr67
	s_mov_b32 s2, exec_lo
	s_wait_kmcnt 0x0
	v_or_b32_e32 v4, s25, v6
	s_delay_alu instid0(VALU_DEP_1)
	v_cmpx_ne_u64_e32 0, v[3:4]
	s_wait_alu 0xfffe
	s_xor_b32 s26, exec_lo, s2
	s_cbranch_execz .LBB0_4
; %bb.3:                                ;   in Loop: Header=BB0_2 Depth=1
	s_cvt_f32_u32 s2, s24
	s_cvt_f32_u32 s27, s25
	s_sub_nc_u64 s[30:31], 0, s[24:25]
	s_wait_alu 0xfffe
	s_delay_alu instid0(SALU_CYCLE_1) | instskip(SKIP_1) | instid1(SALU_CYCLE_2)
	s_fmamk_f32 s2, s27, 0x4f800000, s2
	s_wait_alu 0xfffe
	v_s_rcp_f32 s2, s2
	s_delay_alu instid0(TRANS32_DEP_1) | instskip(SKIP_1) | instid1(SALU_CYCLE_2)
	s_mul_f32 s2, s2, 0x5f7ffffc
	s_wait_alu 0xfffe
	s_mul_f32 s27, s2, 0x2f800000
	s_wait_alu 0xfffe
	s_delay_alu instid0(SALU_CYCLE_2) | instskip(SKIP_1) | instid1(SALU_CYCLE_2)
	s_trunc_f32 s27, s27
	s_wait_alu 0xfffe
	s_fmamk_f32 s2, s27, 0xcf800000, s2
	s_cvt_u32_f32 s29, s27
	s_wait_alu 0xfffe
	s_delay_alu instid0(SALU_CYCLE_1) | instskip(SKIP_1) | instid1(SALU_CYCLE_2)
	s_cvt_u32_f32 s28, s2
	s_wait_alu 0xfffe
	s_mul_u64 s[34:35], s[30:31], s[28:29]
	s_wait_alu 0xfffe
	s_mul_hi_u32 s37, s28, s35
	s_mul_i32 s36, s28, s35
	s_mul_hi_u32 s2, s28, s34
	s_mul_i32 s33, s29, s34
	s_wait_alu 0xfffe
	s_add_nc_u64 s[36:37], s[2:3], s[36:37]
	s_mul_hi_u32 s27, s29, s34
	s_mul_hi_u32 s38, s29, s35
	s_add_co_u32 s2, s36, s33
	s_wait_alu 0xfffe
	s_add_co_ci_u32 s2, s37, s27
	s_mul_i32 s34, s29, s35
	s_add_co_ci_u32 s35, s38, 0
	s_wait_alu 0xfffe
	s_add_nc_u64 s[34:35], s[2:3], s[34:35]
	s_wait_alu 0xfffe
	v_add_co_u32 v4, s2, s28, s34
	s_delay_alu instid0(VALU_DEP_1) | instskip(SKIP_1) | instid1(VALU_DEP_1)
	s_cmp_lg_u32 s2, 0
	s_add_co_ci_u32 s29, s29, s35
	v_readfirstlane_b32 s28, v4
	s_wait_alu 0xfffe
	s_delay_alu instid0(VALU_DEP_1)
	s_mul_u64 s[30:31], s[30:31], s[28:29]
	s_wait_alu 0xfffe
	s_mul_hi_u32 s35, s28, s31
	s_mul_i32 s34, s28, s31
	s_mul_hi_u32 s2, s28, s30
	s_mul_i32 s33, s29, s30
	s_wait_alu 0xfffe
	s_add_nc_u64 s[34:35], s[2:3], s[34:35]
	s_mul_hi_u32 s27, s29, s30
	s_mul_hi_u32 s28, s29, s31
	s_wait_alu 0xfffe
	s_add_co_u32 s2, s34, s33
	s_add_co_ci_u32 s2, s35, s27
	s_mul_i32 s30, s29, s31
	s_add_co_ci_u32 s31, s28, 0
	s_wait_alu 0xfffe
	s_add_nc_u64 s[30:31], s[2:3], s[30:31]
	s_wait_alu 0xfffe
	v_add_co_u32 v4, s2, v4, s30
	s_delay_alu instid0(VALU_DEP_1) | instskip(SKIP_1) | instid1(VALU_DEP_1)
	s_cmp_lg_u32 s2, 0
	s_add_co_ci_u32 s2, s29, s31
	v_mul_hi_u32 v13, v5, v4
	s_wait_alu 0xfffe
	v_mad_co_u64_u32 v[7:8], null, v5, s2, 0
	v_mad_co_u64_u32 v[9:10], null, v6, v4, 0
	;; [unrolled: 1-line block ×3, first 2 shown]
	s_delay_alu instid0(VALU_DEP_3) | instskip(SKIP_1) | instid1(VALU_DEP_4)
	v_add_co_u32 v4, vcc_lo, v13, v7
	s_wait_alu 0xfffd
	v_add_co_ci_u32_e32 v7, vcc_lo, 0, v8, vcc_lo
	s_delay_alu instid0(VALU_DEP_2) | instskip(SKIP_1) | instid1(VALU_DEP_2)
	v_add_co_u32 v4, vcc_lo, v4, v9
	s_wait_alu 0xfffd
	v_add_co_ci_u32_e32 v4, vcc_lo, v7, v10, vcc_lo
	s_wait_alu 0xfffd
	v_add_co_ci_u32_e32 v7, vcc_lo, 0, v12, vcc_lo
	s_delay_alu instid0(VALU_DEP_2) | instskip(SKIP_1) | instid1(VALU_DEP_2)
	v_add_co_u32 v4, vcc_lo, v4, v11
	s_wait_alu 0xfffd
	v_add_co_ci_u32_e32 v9, vcc_lo, 0, v7, vcc_lo
	s_delay_alu instid0(VALU_DEP_2) | instskip(SKIP_1) | instid1(VALU_DEP_3)
	v_mul_lo_u32 v10, s25, v4
	v_mad_co_u64_u32 v[7:8], null, s24, v4, 0
	v_mul_lo_u32 v11, s24, v9
	s_delay_alu instid0(VALU_DEP_2) | instskip(NEXT) | instid1(VALU_DEP_2)
	v_sub_co_u32 v7, vcc_lo, v5, v7
	v_add3_u32 v8, v8, v11, v10
	s_delay_alu instid0(VALU_DEP_1) | instskip(SKIP_1) | instid1(VALU_DEP_1)
	v_sub_nc_u32_e32 v10, v6, v8
	s_wait_alu 0xfffd
	v_subrev_co_ci_u32_e64 v10, s2, s25, v10, vcc_lo
	v_add_co_u32 v11, s2, v4, 2
	s_wait_alu 0xf1ff
	v_add_co_ci_u32_e64 v12, s2, 0, v9, s2
	v_sub_co_u32 v13, s2, v7, s24
	v_sub_co_ci_u32_e32 v8, vcc_lo, v6, v8, vcc_lo
	s_wait_alu 0xf1ff
	v_subrev_co_ci_u32_e64 v10, s2, 0, v10, s2
	s_delay_alu instid0(VALU_DEP_3) | instskip(NEXT) | instid1(VALU_DEP_3)
	v_cmp_le_u32_e32 vcc_lo, s24, v13
	v_cmp_eq_u32_e64 s2, s25, v8
	s_wait_alu 0xfffd
	v_cndmask_b32_e64 v13, 0, -1, vcc_lo
	v_cmp_le_u32_e32 vcc_lo, s25, v10
	s_wait_alu 0xfffd
	v_cndmask_b32_e64 v14, 0, -1, vcc_lo
	v_cmp_le_u32_e32 vcc_lo, s24, v7
	;; [unrolled: 3-line block ×3, first 2 shown]
	s_wait_alu 0xfffd
	v_cndmask_b32_e64 v15, 0, -1, vcc_lo
	v_cmp_eq_u32_e32 vcc_lo, s25, v10
	s_wait_alu 0xf1ff
	s_delay_alu instid0(VALU_DEP_2)
	v_cndmask_b32_e64 v7, v15, v7, s2
	s_wait_alu 0xfffd
	v_cndmask_b32_e32 v10, v14, v13, vcc_lo
	v_add_co_u32 v13, vcc_lo, v4, 1
	s_wait_alu 0xfffd
	v_add_co_ci_u32_e32 v14, vcc_lo, 0, v9, vcc_lo
	s_delay_alu instid0(VALU_DEP_3) | instskip(SKIP_1) | instid1(VALU_DEP_2)
	v_cmp_ne_u32_e32 vcc_lo, 0, v10
	s_wait_alu 0xfffd
	v_cndmask_b32_e32 v8, v14, v12, vcc_lo
	v_cndmask_b32_e32 v10, v13, v11, vcc_lo
	v_cmp_ne_u32_e32 vcc_lo, 0, v7
	s_wait_alu 0xfffd
	s_delay_alu instid0(VALU_DEP_2)
	v_dual_cndmask_b32 v67, v9, v8 :: v_dual_cndmask_b32 v66, v4, v10
.LBB0_4:                                ;   in Loop: Header=BB0_2 Depth=1
	s_wait_alu 0xfffe
	s_and_not1_saveexec_b32 s2, s26
	s_cbranch_execz .LBB0_6
; %bb.5:                                ;   in Loop: Header=BB0_2 Depth=1
	v_cvt_f32_u32_e32 v4, s24
	s_sub_co_i32 s26, 0, s24
	v_mov_b32_e32 v67, v3
	s_delay_alu instid0(VALU_DEP_2) | instskip(NEXT) | instid1(TRANS32_DEP_1)
	v_rcp_iflag_f32_e32 v4, v4
	v_mul_f32_e32 v4, 0x4f7ffffe, v4
	s_delay_alu instid0(VALU_DEP_1) | instskip(SKIP_1) | instid1(VALU_DEP_1)
	v_cvt_u32_f32_e32 v4, v4
	s_wait_alu 0xfffe
	v_mul_lo_u32 v7, s26, v4
	s_delay_alu instid0(VALU_DEP_1) | instskip(NEXT) | instid1(VALU_DEP_1)
	v_mul_hi_u32 v7, v4, v7
	v_add_nc_u32_e32 v4, v4, v7
	s_delay_alu instid0(VALU_DEP_1) | instskip(NEXT) | instid1(VALU_DEP_1)
	v_mul_hi_u32 v4, v5, v4
	v_mul_lo_u32 v7, v4, s24
	v_add_nc_u32_e32 v8, 1, v4
	s_delay_alu instid0(VALU_DEP_2) | instskip(NEXT) | instid1(VALU_DEP_1)
	v_sub_nc_u32_e32 v7, v5, v7
	v_subrev_nc_u32_e32 v9, s24, v7
	v_cmp_le_u32_e32 vcc_lo, s24, v7
	s_wait_alu 0xfffd
	s_delay_alu instid0(VALU_DEP_2) | instskip(NEXT) | instid1(VALU_DEP_1)
	v_dual_cndmask_b32 v7, v7, v9 :: v_dual_cndmask_b32 v4, v4, v8
	v_cmp_le_u32_e32 vcc_lo, s24, v7
	s_delay_alu instid0(VALU_DEP_2) | instskip(SKIP_1) | instid1(VALU_DEP_1)
	v_add_nc_u32_e32 v8, 1, v4
	s_wait_alu 0xfffd
	v_cndmask_b32_e32 v66, v4, v8, vcc_lo
.LBB0_6:                                ;   in Loop: Header=BB0_2 Depth=1
	s_wait_alu 0xfffe
	s_or_b32 exec_lo, exec_lo, s2
	v_mul_lo_u32 v4, v67, s24
	s_delay_alu instid0(VALU_DEP_2)
	v_mul_lo_u32 v9, v66, s25
	s_load_b64 s[26:27], s[18:19], 0x0
	v_mad_co_u64_u32 v[7:8], null, v66, s24, 0
	s_load_b64 s[24:25], s[16:17], 0x0
	s_add_nc_u64 s[20:21], s[20:21], 1
	s_add_nc_u64 s[16:17], s[16:17], 8
	s_wait_alu 0xfffe
	v_cmp_ge_u64_e64 s2, s[20:21], s[10:11]
	s_add_nc_u64 s[18:19], s[18:19], 8
	s_add_nc_u64 s[22:23], s[22:23], 8
	v_add3_u32 v4, v8, v9, v4
	v_sub_co_u32 v5, vcc_lo, v5, v7
	s_wait_alu 0xfffd
	s_delay_alu instid0(VALU_DEP_2) | instskip(SKIP_2) | instid1(VALU_DEP_1)
	v_sub_co_ci_u32_e32 v4, vcc_lo, v6, v4, vcc_lo
	s_and_b32 vcc_lo, exec_lo, s2
	s_wait_kmcnt 0x0
	v_mul_lo_u32 v6, s26, v4
	v_mul_lo_u32 v7, s27, v5
	v_mad_co_u64_u32 v[1:2], null, s26, v5, v[1:2]
	v_mul_lo_u32 v4, s24, v4
	v_mul_lo_u32 v8, s25, v5
	v_mad_co_u64_u32 v[64:65], null, s24, v5, v[64:65]
	s_delay_alu instid0(VALU_DEP_4) | instskip(NEXT) | instid1(VALU_DEP_2)
	v_add3_u32 v2, v7, v2, v6
	v_add3_u32 v65, v8, v65, v4
	s_wait_alu 0xfffe
	s_cbranch_vccnz .LBB0_9
; %bb.7:                                ;   in Loop: Header=BB0_2 Depth=1
	v_dual_mov_b32 v5, v66 :: v_dual_mov_b32 v6, v67
	s_branch .LBB0_2
.LBB0_8:
	v_dual_mov_b32 v65, v2 :: v_dual_mov_b32 v64, v1
	v_dual_mov_b32 v67, v6 :: v_dual_mov_b32 v66, v5
.LBB0_9:
	s_load_b64 s[0:1], s[0:1], 0x28
	v_mul_hi_u32 v3, 0x13b13b2, v0
                                        ; implicit-def: $vgpr68
	s_wait_kmcnt 0x0
	s_delay_alu instid0(VALU_DEP_2) | instskip(SKIP_1) | instid1(VALU_DEP_1)
	v_cmp_gt_u64_e32 vcc_lo, s[0:1], v[66:67]
	v_cmp_le_u64_e64 s0, s[0:1], v[66:67]
	s_and_saveexec_b32 s1, s0
	s_wait_alu 0xfffe
	s_xor_b32 s0, exec_lo, s1
; %bb.10:
	s_delay_alu instid0(VALU_DEP_3) | instskip(NEXT) | instid1(VALU_DEP_1)
	v_mul_u32_u24_e32 v1, 0xd0, v3
                                        ; implicit-def: $vgpr3
	v_sub_nc_u32_e32 v68, v0, v1
                                        ; implicit-def: $vgpr0
                                        ; implicit-def: $vgpr1_vgpr2
; %bb.11:
	s_wait_alu 0xfffe
	s_and_not1_saveexec_b32 s1, s0
	s_cbranch_execz .LBB0_13
; %bb.12:
	s_lshl_b64 s[2:3], s[10:11], 3
	v_lshlrev_b64_e32 v[1:2], 4, v[1:2]
	s_wait_alu 0xfffe
	s_add_nc_u64 s[2:3], s[12:13], s[2:3]
	s_load_b64 s[2:3], s[2:3], 0x0
	s_wait_kmcnt 0x0
	v_mul_lo_u32 v6, s3, v66
	v_mul_lo_u32 v7, s2, v67
	v_mad_co_u64_u32 v[4:5], null, s2, v66, 0
	s_delay_alu instid0(VALU_DEP_1) | instskip(SKIP_1) | instid1(VALU_DEP_2)
	v_add3_u32 v5, v5, v7, v6
	v_mul_u32_u24_e32 v6, 0xd0, v3
	v_lshlrev_b64_e32 v[3:4], 4, v[4:5]
	s_delay_alu instid0(VALU_DEP_2) | instskip(NEXT) | instid1(VALU_DEP_1)
	v_sub_nc_u32_e32 v68, v0, v6
	v_lshlrev_b32_e32 v20, 4, v68
	s_delay_alu instid0(VALU_DEP_3) | instskip(SKIP_1) | instid1(VALU_DEP_4)
	v_add_co_u32 v0, s0, s4, v3
	s_wait_alu 0xf1ff
	v_add_co_ci_u32_e64 v3, s0, s5, v4, s0
	s_delay_alu instid0(VALU_DEP_2) | instskip(SKIP_1) | instid1(VALU_DEP_2)
	v_add_co_u32 v0, s0, v0, v1
	s_wait_alu 0xf1ff
	v_add_co_ci_u32_e64 v1, s0, v3, v2, s0
	s_delay_alu instid0(VALU_DEP_2) | instskip(SKIP_1) | instid1(VALU_DEP_2)
	v_add_co_u32 v16, s0, v0, v20
	s_wait_alu 0xf1ff
	v_add_co_ci_u32_e64 v17, s0, 0, v1, s0
	s_clause 0x4
	global_load_b128 v[0:3], v[16:17], off
	global_load_b128 v[4:7], v[16:17], off offset:3328
	global_load_b128 v[8:11], v[16:17], off offset:6656
	;; [unrolled: 1-line block ×4, first 2 shown]
	v_add_nc_u32_e32 v20, 0, v20
	s_wait_loadcnt 0x4
	ds_store_b128 v20, v[0:3]
	s_wait_loadcnt 0x3
	ds_store_b128 v20, v[4:7] offset:3328
	s_wait_loadcnt 0x2
	ds_store_b128 v20, v[8:11] offset:6656
	;; [unrolled: 2-line block ×4, first 2 shown]
.LBB0_13:
	s_wait_alu 0xfffe
	s_or_b32 exec_lo, exec_lo, s1
	v_lshl_add_u32 v70, v68, 4, 0
	global_wb scope:SCOPE_SE
	s_wait_dscnt 0x0
	s_barrier_signal -1
	s_barrier_wait -1
	global_inv scope:SCOPE_SE
	ds_load_b128 v[8:11], v70
	ds_load_b128 v[20:23], v70 offset:1280
	ds_load_b128 v[24:27], v70 offset:2560
	;; [unrolled: 1-line block ×6, first 2 shown]
	s_mov_b32 s34, 0x24c2f84
	s_mov_b32 s35, 0xbfe5384d
	;; [unrolled: 1-line block ×14, first 2 shown]
	s_wait_dscnt 0x5
	v_add_f64_e32 v[4:5], v[8:9], v[20:21]
	v_add_f64_e32 v[6:7], v[10:11], v[22:23]
	s_mov_b32 s40, 0x4bc48dbf
	s_wait_dscnt 0x2
	v_add_f64_e64 v[56:57], v[22:23], -v[2:3]
	v_add_f64_e32 v[75:76], v[20:21], v[0:1]
	s_wait_dscnt 0x0
	v_add_f64_e32 v[87:88], v[32:33], v[16:17]
	v_add_f64_e64 v[91:92], v[32:33], -v[16:17]
	v_add_f64_e32 v[89:90], v[34:35], v[18:19]
	v_add_f64_e64 v[93:94], v[34:35], -v[18:19]
	s_mov_b32 s13, 0xbfddbe06
	s_mov_b32 s1, 0x3fddbe06
	;; [unrolled: 1-line block ×9, first 2 shown]
	s_wait_alu 0xfffe
	s_mov_b32 s4, s2
	s_mov_b32 s36, s34
	s_mov_b32 s42, s40
	s_mov_b32 s25, 0x3fe22d96
	s_mov_b32 s44, 0x93053d00
	s_mov_b32 s45, 0xbfef11f4
	v_add_f64_e32 v[58:59], v[22:23], v[2:3]
	v_add_f64_e64 v[77:78], v[20:21], -v[0:1]
	s_mov_b32 s18, 0xe00740e9
	s_mov_b32 s28, 0xb2365da1
	;; [unrolled: 1-line block ×6, first 2 shown]
	ds_load_b128 v[12:15], v70 offset:12800
	v_add_f64_e32 v[52:53], v[4:5], v[24:25]
	v_add_f64_e32 v[54:55], v[6:7], v[26:27]
	ds_load_b128 v[4:7], v70 offset:14080
	v_mul_f64_e32 v[107:108], s[34:35], v[56:57]
	ds_load_b128 v[36:39], v70 offset:6400
	ds_load_b128 v[40:43], v70 offset:10240
	;; [unrolled: 1-line block ×4, first 2 shown]
	v_mul_f64_e32 v[99:100], s[12:13], v[56:57]
	v_mul_f64_e32 v[101:102], s[2:3], v[56:57]
	;; [unrolled: 1-line block ×8, first 2 shown]
	s_wait_alu 0xfffe
	v_mul_f64_e32 v[93:94], s[4:5], v[93:94]
	v_mul_f64_e32 v[105:106], s[26:27], v[56:57]
	;; [unrolled: 1-line block ×7, first 2 shown]
	s_wait_dscnt 0x5
	v_add_f64_e64 v[71:72], v[30:31], -v[14:15]
	v_add_f64_e32 v[83:84], v[28:29], v[12:13]
	s_wait_dscnt 0x4
	v_add_f64_e64 v[60:61], v[26:27], -v[6:7]
	v_add_f64_e32 v[79:80], v[24:25], v[4:5]
	v_add_f64_e64 v[81:82], v[24:25], -v[4:5]
	s_wait_dscnt 0x2
	v_add_f64_e32 v[95:96], v[36:37], v[40:41]
	v_add_f64_e64 v[24:25], v[36:37], -v[40:41]
	s_wait_dscnt 0x0
	v_add_f64_e32 v[22:23], v[44:45], v[48:49]
	v_add_f64_e64 v[20:21], v[44:45], -v[48:49]
	v_add_f64_e32 v[62:63], v[26:27], v[6:7]
	v_add_f64_e64 v[85:86], v[28:29], -v[12:13]
	v_add_f64_e32 v[26:27], v[46:47], v[50:51]
	v_add_f64_e32 v[73:74], v[30:31], v[14:15]
	v_mul_f64_e32 v[109:110], s[18:19], v[58:59]
	v_mul_f64_e32 v[111:112], s[24:25], v[58:59]
	;; [unrolled: 1-line block ×5, first 2 shown]
	v_add_f64_e32 v[52:53], v[52:53], v[28:29]
	v_add_f64_e32 v[54:55], v[54:55], v[30:31]
	v_add_f64_e64 v[28:29], v[46:47], -v[50:51]
	v_mul_f64_e32 v[58:59], s[44:45], v[58:59]
	v_add_f64_e32 v[30:31], v[38:39], v[42:43]
	v_add_f64_e64 v[97:98], v[38:39], -v[42:43]
	v_mul_f64_e32 v[173:174], s[44:45], v[89:90]
	v_mul_f64_e32 v[89:90], s[24:25], v[89:90]
	v_fma_f64 v[177:178], v[75:76], s[18:19], v[99:100]
	v_fma_f64 v[99:100], v[75:76], s[18:19], -v[99:100]
	v_fma_f64 v[179:180], v[75:76], s[24:25], v[101:102]
	v_fma_f64 v[101:102], v[75:76], s[24:25], -v[101:102]
	;; [unrolled: 2-line block ×6, first 2 shown]
	v_mul_f64_e32 v[147:148], s[2:3], v[71:72]
	v_mul_f64_e32 v[123:124], s[16:17], v[71:72]
	;; [unrolled: 1-line block ×18, first 2 shown]
	v_add_f64_e32 v[32:33], v[52:53], v[32:33]
	v_add_f64_e32 v[34:35], v[54:55], v[34:35]
	v_mul_f64_e32 v[54:55], s[20:21], v[60:61]
	v_mul_f64_e32 v[52:53], s[36:37], v[60:61]
	;; [unrolled: 1-line block ×6, first 2 shown]
	v_fma_f64 v[185:186], v[77:78], s[4:5], v[111:112]
	v_fma_f64 v[111:112], v[77:78], s[2:3], v[111:112]
	;; [unrolled: 1-line block ×10, first 2 shown]
	v_mul_f64_e32 v[175:176], s[34:35], v[97:98]
	v_fma_f64 v[235:236], v[87:88], s[22:23], v[161:162]
	v_fma_f64 v[219:220], v[83:84], s[24:25], v[147:148]
	;; [unrolled: 1-line block ×3, first 2 shown]
	v_fma_f64 v[123:124], v[83:84], s[22:23], -v[123:124]
	v_fma_f64 v[201:202], v[79:80], s[28:29], v[127:128]
	v_fma_f64 v[127:128], v[79:80], s[28:29], -v[127:128]
	v_fma_f64 v[205:206], v[79:80], s[44:45], v[135:136]
	;; [unrolled: 2-line block ×4, first 2 shown]
	v_fma_f64 v[121:122], v[81:82], s[2:3], v[121:122]
	v_fma_f64 v[203:204], v[81:82], s[30:31], v[129:130]
	;; [unrolled: 1-line block ×5, first 2 shown]
	v_fma_f64 v[145:146], v[83:84], s[18:19], -v[145:146]
	v_fma_f64 v[213:214], v[81:82], s[12:13], v[62:63]
	v_fma_f64 v[62:63], v[81:82], s[0:1], v[62:63]
	v_add_f64_e32 v[32:33], v[32:33], v[36:37]
	v_fma_f64 v[36:37], v[75:76], s[38:39], v[107:108]
	v_add_f64_e32 v[34:35], v[34:35], v[38:39]
	v_fma_f64 v[209:210], v[79:80], s[22:23], v[54:55]
	v_fma_f64 v[38:39], v[75:76], s[38:39], -v[107:108]
	v_fma_f64 v[107:108], v[75:76], s[44:45], v[56:57]
	v_fma_f64 v[56:57], v[75:76], s[44:45], -v[56:57]
	v_fma_f64 v[75:76], v[77:78], s[0:1], v[109:110]
	v_fma_f64 v[109:110], v[77:78], s[12:13], v[109:110]
	;; [unrolled: 1-line block ×3, first 2 shown]
	v_fma_f64 v[119:120], v[79:80], s[24:25], -v[119:120]
	v_fma_f64 v[207:208], v[79:80], s[38:39], v[52:53]
	v_fma_f64 v[52:53], v[79:80], s[38:39], -v[52:53]
	v_fma_f64 v[54:55], v[79:80], s[22:23], -v[54:55]
	v_fma_f64 v[211:212], v[79:80], s[18:19], v[60:61]
	v_fma_f64 v[60:61], v[79:80], s[18:19], -v[60:61]
	v_fma_f64 v[79:80], v[81:82], s[26:27], v[129:130]
	v_fma_f64 v[129:130], v[81:82], s[34:35], v[139:140]
	v_fma_f64 v[147:148], v[83:84], s[24:25], -v[147:148]
	v_fma_f64 v[221:222], v[83:84], s[38:39], v[71:72]
	v_fma_f64 v[71:72], v[83:84], s[38:39], -v[71:72]
	v_fma_f64 v[223:224], v[85:86], s[26:27], v[149:150]
	v_fma_f64 v[149:150], v[85:86], s[30:31], v[149:150]
	;; [unrolled: 1-line block ×8, first 2 shown]
	v_fma_f64 v[161:162], v[87:88], s[22:23], -v[161:162]
	v_fma_f64 v[237:238], v[91:92], s[34:35], v[167:168]
	v_fma_f64 v[167:168], v[91:92], s[36:37], v[167:168]
	v_add_f64_e32 v[177:178], v[8:9], v[177:178]
	v_add_f64_e32 v[99:100], v[8:9], v[99:100]
	;; [unrolled: 1-line block ×9, first 2 shown]
	v_fma_f64 v[44:45], v[81:82], s[42:43], v[137:138]
	v_fma_f64 v[46:47], v[81:82], s[40:41], v[137:138]
	;; [unrolled: 1-line block ×6, first 2 shown]
	v_fma_f64 v[131:132], v[83:84], s[44:45], -v[131:132]
	v_fma_f64 v[83:84], v[85:86], s[42:43], v[133:134]
	v_fma_f64 v[133:134], v[85:86], s[40:41], v[133:134]
	;; [unrolled: 1-line block ×3, first 2 shown]
	v_fma_f64 v[155:156], v[87:88], s[28:29], -v[155:156]
	v_add_f64_e32 v[75:76], v[10:11], v[75:76]
	v_add_f64_e32 v[109:110], v[10:11], v[109:110]
	;; [unrolled: 1-line block ×17, first 2 shown]
	v_fma_f64 v[56:57], v[91:92], s[12:13], v[169:170]
	v_fma_f64 v[58:59], v[91:92], s[0:1], v[169:170]
	;; [unrolled: 1-line block ×4, first 2 shown]
	v_mul_f64_e32 v[239:240], s[2:3], v[97:98]
	v_mul_f64_e32 v[241:242], s[42:43], v[97:98]
	;; [unrolled: 1-line block ×3, first 2 shown]
	v_add_f64_e32 v[32:33], v[32:33], v[48:49]
	v_add_f64_e32 v[36:37], v[209:210], v[36:37]
	v_fma_f64 v[48:49], v[87:88], s[24:25], v[93:94]
	v_add_f64_e32 v[34:35], v[34:35], v[50:51]
	v_fma_f64 v[50:51], v[87:88], s[44:45], v[163:164]
	v_fma_f64 v[163:164], v[87:88], s[44:45], -v[163:164]
	v_fma_f64 v[87:88], v[87:88], s[24:25], -v[93:94]
	v_fma_f64 v[93:94], v[91:92], s[30:31], v[165:166]
	v_fma_f64 v[165:166], v[91:92], s[26:27], v[165:166]
	v_fma_f64 v[245:246], v[95:96], s[38:39], v[175:176]
	v_fma_f64 v[175:176], v[95:96], s[38:39], -v[175:176]
	v_add_f64_e32 v[77:78], v[77:78], v[177:178]
	v_add_f64_e32 v[101:102], v[127:128], v[101:102]
	v_add_f64_e32 v[79:80], v[79:80], v[111:112]
	v_add_f64_e32 v[75:76], v[195:196], v[75:76]
	v_mul_f64_e32 v[127:128], s[40:41], v[28:29]
	v_add_f64_e32 v[111:112], v[205:206], v[181:182]
	v_add_f64_e32 v[44:45], v[44:45], v[187:188]
	;; [unrolled: 1-line block ×15, first 2 shown]
	v_mul_f64_e32 v[135:136], s[44:45], v[26:27]
	v_mul_f64_e32 v[113:114], s[22:23], v[30:31]
	;; [unrolled: 1-line block ×4, first 2 shown]
	v_fma_f64 v[249:250], v[95:96], s[24:25], v[239:240]
	v_fma_f64 v[239:240], v[95:96], s[24:25], -v[239:240]
	v_fma_f64 v[251:252], v[95:96], s[44:45], v[241:242]
	v_add_f64_e32 v[32:33], v[32:33], v[40:41]
	v_add_f64_e32 v[36:37], v[219:220], v[36:37]
	scratch_store_b64 off, v[48:49], off    ; 8-byte Folded Spill
	v_add_f64_e32 v[34:35], v[34:35], v[42:43]
	v_fma_f64 v[40:41], v[91:92], s[40:41], v[173:174]
	v_fma_f64 v[42:43], v[91:92], s[42:43], v[173:174]
	;; [unrolled: 1-line block ×4, first 2 shown]
	v_mul_f64_e32 v[91:92], s[20:21], v[97:98]
	v_mul_f64_e32 v[97:98], s[26:27], v[97:98]
	v_fma_f64 v[241:242], v[95:96], s[44:45], -v[241:242]
	v_fma_f64 v[253:254], v[95:96], s[18:19], v[243:244]
	v_fma_f64 v[243:244], v[95:96], s[18:19], -v[243:244]
	v_add_f64_e32 v[62:63], v[197:198], v[77:78]
	v_add_f64_e32 v[75:76], v[199:200], v[75:76]
	;; [unrolled: 1-line block ×19, first 2 shown]
	v_mul_f64_e32 v[105:106], s[0:1], v[28:29]
	v_mul_f64_e32 v[183:184], s[18:19], v[26:27]
	v_mul_f64_e32 v[54:55], s[4:5], v[28:29]
	v_mul_f64_e32 v[141:142], s[26:27], v[28:29]
	v_mul_f64_e32 v[187:188], s[38:39], v[26:27]
	v_mul_f64_e32 v[191:192], s[24:25], v[26:27]
	v_add_f64_e32 v[16:17], v[32:33], v[16:17]
	v_add_f64_e32 v[36:37], v[50:51], v[36:37]
	scratch_load_b64 v[50:51], off, off th:TH_LOAD_LU ; 8-byte Folded Reload
	v_add_f64_e32 v[18:19], v[34:35], v[18:19]
	v_mul_f64_e32 v[60:61], s[28:29], v[26:27]
	v_mul_f64_e32 v[26:27], s[22:23], v[26:27]
	v_fma_f64 v[34:35], v[22:23], s[44:45], v[127:128]
	global_wb scope:SCOPE_SE
	s_wait_loadcnt 0x0
	s_wait_storecnt 0x0
	v_fma_f64 v[247:248], v[95:96], s[22:23], v[91:92]
	v_fma_f64 v[91:92], v[95:96], s[22:23], -v[91:92]
	v_fma_f64 v[48:49], v[95:96], s[28:29], v[97:98]
	v_fma_f64 v[95:96], v[95:96], s[28:29], -v[97:98]
	v_add_f64_e32 v[97:98], v[119:120], v[99:100]
	v_add_f64_e32 v[99:100], v[121:122], v[109:110]
	;; [unrolled: 1-line block ×4, first 2 shown]
	v_mul_f64_e32 v[121:122], s[38:39], v[30:31]
	v_mul_f64_e32 v[179:180], s[24:25], v[30:31]
	;; [unrolled: 1-line block ×5, first 2 shown]
	v_add_f64_e32 v[62:63], v[85:86], v[62:63]
	v_add_f64_e32 v[71:72], v[93:94], v[75:76]
	;; [unrolled: 1-line block ×18, first 2 shown]
	v_fma_f64 v[16:17], v[24:25], s[12:13], v[137:138]
	v_fma_f64 v[85:86], v[20:21], s[12:13], v[183:184]
	v_add_f64_e32 v[14:15], v[18:19], v[14:15]
	v_fma_f64 v[18:19], v[24:25], s[0:1], v[137:138]
	v_fma_f64 v[93:94], v[22:23], s[18:19], -v[105:106]
	v_fma_f64 v[137:138], v[22:23], s[24:25], v[54:55]
	v_fma_f64 v[54:55], v[22:23], s[24:25], -v[54:55]
	v_fma_f64 v[143:144], v[22:23], s[28:29], v[141:142]
	v_fma_f64 v[117:118], v[20:21], s[2:3], v[191:192]
	;; [unrolled: 1-line block ×4, first 2 shown]
	v_add_f64_e32 v[77:78], v[123:124], v[97:98]
	v_add_f64_e32 v[97:98], v[125:126], v[99:100]
	;; [unrolled: 1-line block ×4, first 2 shown]
	v_fma_f64 v[32:33], v[24:25], s[36:37], v[121:122]
	v_fma_f64 v[99:100], v[20:21], s[42:43], v[135:136]
	;; [unrolled: 1-line block ×3, first 2 shown]
	v_fma_f64 v[119:120], v[22:23], s[44:45], -v[127:128]
	v_fma_f64 v[121:122], v[20:21], s[40:41], v[135:136]
	v_fma_f64 v[123:124], v[24:25], s[16:17], v[113:114]
	;; [unrolled: 1-line block ×7, first 2 shown]
	v_add_f64_e32 v[62:63], v[245:246], v[62:63]
	v_fma_f64 v[87:88], v[22:23], s[22:23], v[28:29]
	v_fma_f64 v[89:90], v[22:23], s[22:23], -v[28:29]
	v_fma_f64 v[28:29], v[20:21], s[36:37], v[187:188]
	v_fma_f64 v[131:132], v[20:21], s[16:17], v[26:27]
	;; [unrolled: 1-line block ×3, first 2 shown]
	v_add_f64_e32 v[56:57], v[239:240], v[56:57]
	v_add_f64_e32 v[58:59], v[251:252], v[58:59]
	;; [unrolled: 1-line block ×4, first 2 shown]
	s_barrier_signal -1
	v_add_f64_e32 v[12:13], v[12:13], v[4:5]
	s_barrier_wait -1
	global_inv scope:SCOPE_SE
	v_add_f64_e32 v[14:15], v[14:15], v[6:7]
	v_add_f64_e32 v[73:74], v[155:156], v[77:78]
	;; [unrolled: 1-line block ×5, first 2 shown]
	v_fma_f64 v[83:84], v[24:25], s[30:31], v[30:31]
	v_fma_f64 v[24:25], v[24:25], s[26:27], v[30:31]
	;; [unrolled: 1-line block ×4, first 2 shown]
	v_fma_f64 v[105:106], v[22:23], s[38:39], -v[185:186]
	v_add_f64_e32 v[32:33], v[32:33], v[71:72]
	v_add_f64_e32 v[26:27], v[113:114], v[79:80]
	;; [unrolled: 1-line block ×16, first 2 shown]
	v_fma_f64 v[81:82], v[22:23], s[28:29], -v[141:142]
	v_fma_f64 v[22:23], v[20:21], s[0:1], v[183:184]
	v_fma_f64 v[109:110], v[20:21], s[34:35], v[187:188]
	;; [unrolled: 1-line block ×3, first 2 shown]
	v_add_f64_e32 v[20:21], v[91:92], v[101:102]
	v_add_f64_e32 v[91:92], v[125:126], v[44:45]
	;; [unrolled: 1-line block ×9, first 2 shown]
	s_mov_b32 s1, exec_lo
	v_add_f64_e32 v[40:41], v[119:120], v[71:72]
	v_add_f64_e32 v[42:43], v[121:122], v[73:74]
	;; [unrolled: 1-line block ×12, first 2 shown]
	s_delay_alu instid0(VALU_DEP_2) | instskip(NEXT) | instid1(VALU_DEP_2)
	v_add_f64_e32 v[135:136], v[48:49], v[50:51]
	v_add_f64_e32 v[83:84], v[83:84], v[107:108]
	;; [unrolled: 1-line block ×10, first 2 shown]
	v_cmpx_gt_u32_e32 0x50, v68
	s_cbranch_execz .LBB0_15
; %bb.14:
	v_mad_u32_u24 v52, 0xc0, v68, v70
	ds_store_b128 v52, v[0:3]
	ds_store_b128 v52, v[4:7] offset:16
	ds_store_b128 v52, v[8:11] offset:32
	;; [unrolled: 1-line block ×12, first 2 shown]
.LBB0_15:
	s_wait_alu 0xfffe
	s_or_b32 exec_lo, exec_lo, s1
	v_cmp_gt_u32_e64 s0, 0x41, v68
	s_lshl_b64 s[2:3], s[10:11], 3
	global_wb scope:SCOPE_SE
	s_wait_dscnt 0x0
	s_barrier_signal -1
	s_barrier_wait -1
	global_inv scope:SCOPE_SE
                                        ; implicit-def: $vgpr54_vgpr55
                                        ; implicit-def: $vgpr58_vgpr59
                                        ; implicit-def: $vgpr62_vgpr63
	s_and_saveexec_b32 s1, s0
	s_cbranch_execz .LBB0_17
; %bb.16:
	ds_load_b128 v[0:3], v70
	ds_load_b128 v[4:7], v70 offset:1040
	ds_load_b128 v[8:11], v70 offset:2080
	;; [unrolled: 1-line block ×15, first 2 shown]
.LBB0_17:
	s_wait_alu 0xfffe
	s_or_b32 exec_lo, exec_lo, s1
	s_add_nc_u64 s[2:3], s[14:15], s[2:3]
	global_wb scope:SCOPE_SE
	s_wait_dscnt 0x0
	s_barrier_signal -1
	s_barrier_wait -1
	global_inv scope:SCOPE_SE
	s_and_saveexec_b32 s10, s0
	s_cbranch_execz .LBB0_19
; %bb.18:
	v_and_b32_e32 v69, 0xff, v68
	s_mov_b32 s0, 0x667f3bcd
	s_mov_b32 s1, 0x3fe6a09e
	;; [unrolled: 1-line block ×3, first 2 shown]
	s_wait_alu 0xfffe
	s_mov_b32 s4, s0
	v_mul_lo_u16 v69, 0x4f, v69
	s_mov_b32 s12, 0xcf328d46
	s_mov_b32 s13, 0x3fed906b
	;; [unrolled: 1-line block ×4, first 2 shown]
	v_lshrrev_b16 v69, 10, v69
	s_mov_b32 s17, 0x3fd87de2
	s_mov_b32 s16, s14
	;; [unrolled: 1-line block ×3, first 2 shown]
	s_wait_alu 0xfffe
	s_mov_b32 s18, s12
	v_mul_lo_u16 v71, v69, 13
	v_and_b32_e32 v69, 0xffff, v69
	s_delay_alu instid0(VALU_DEP_2) | instskip(NEXT) | instid1(VALU_DEP_2)
	v_sub_nc_u16 v71, v68, v71
	v_mul_u32_u24_e32 v69, 0xd0, v69
	s_delay_alu instid0(VALU_DEP_2) | instskip(NEXT) | instid1(VALU_DEP_1)
	v_and_b32_e32 v71, 0xff, v71
	v_mul_u32_u24_e32 v72, 15, v71
	s_delay_alu instid0(VALU_DEP_3) | instskip(NEXT) | instid1(VALU_DEP_2)
	v_or_b32_e32 v69, v69, v71
	v_lshlrev_b32_e32 v128, 4, v72
	s_delay_alu instid0(VALU_DEP_2)
	v_lshl_add_u32 v69, v69, 4, 0
	s_clause 0xe
	global_load_b128 v[72:75], v128, s[8:9] offset:16
	global_load_b128 v[76:79], v128, s[8:9] offset:144
	global_load_b128 v[80:83], v128, s[8:9] offset:80
	global_load_b128 v[84:87], v128, s[8:9] offset:208
	global_load_b128 v[88:91], v128, s[8:9] offset:112
	global_load_b128 v[92:95], v128, s[8:9] offset:48
	global_load_b128 v[96:99], v128, s[8:9] offset:176
	global_load_b128 v[100:103], v128, s[8:9]
	global_load_b128 v[104:107], v128, s[8:9] offset:128
	global_load_b128 v[108:111], v128, s[8:9] offset:64
	global_load_b128 v[112:115], v128, s[8:9] offset:192
	global_load_b128 v[116:119], v128, s[8:9] offset:32
	global_load_b128 v[120:123], v128, s[8:9] offset:160
	global_load_b128 v[124:127], v128, s[8:9] offset:96
	global_load_b128 v[128:131], v128, s[8:9] offset:224
	s_wait_loadcnt 0xe
	v_mul_f64_e32 v[132:133], v[8:9], v[74:75]
	s_wait_loadcnt 0xd
	v_mul_f64_e32 v[134:135], v[48:49], v[78:79]
	;; [unrolled: 2-line block ×7, first 2 shown]
	v_mul_f64_e32 v[74:75], v[10:11], v[74:75]
	v_mul_f64_e32 v[78:79], v[50:51], v[78:79]
	;; [unrolled: 1-line block ×4, first 2 shown]
	s_wait_loadcnt 0x7
	v_mul_f64_e32 v[146:147], v[4:5], v[102:103]
	s_wait_loadcnt 0x6
	v_mul_f64_e32 v[148:149], v[36:37], v[106:107]
	;; [unrolled: 2-line block ×8, first 2 shown]
	v_mul_f64_e32 v[118:119], v[14:15], v[118:119]
	v_mul_f64_e32 v[122:123], v[46:47], v[122:123]
	;; [unrolled: 1-line block ×11, first 2 shown]
	v_fma_f64 v[10:11], v[10:11], v[72:73], -v[132:133]
	v_fma_f64 v[50:51], v[50:51], v[76:77], -v[134:135]
	v_fma_f64 v[28:29], v[28:29], v[80:81], v[136:137]
	v_fma_f64 v[56:57], v[56:57], v[84:85], v[138:139]
	v_fma_f64 v[26:27], v[26:27], v[88:89], -v[140:141]
	v_fma_f64 v[16:17], v[16:17], v[92:93], v[142:143]
	v_fma_f64 v[40:41], v[40:41], v[96:97], v[144:145]
	;; [unrolled: 1-line block ×4, first 2 shown]
	v_fma_f64 v[30:31], v[30:31], v[80:81], -v[82:83]
	v_fma_f64 v[58:59], v[58:59], v[84:85], -v[86:87]
	;; [unrolled: 1-line block ×4, first 2 shown]
	v_fma_f64 v[20:21], v[20:21], v[108:109], v[150:151]
	v_fma_f64 v[52:53], v[52:53], v[112:113], v[152:153]
	v_fma_f64 v[14:15], v[14:15], v[116:117], -v[154:155]
	v_fma_f64 v[46:47], v[46:47], v[120:121], -v[156:157]
	v_fma_f64 v[32:33], v[32:33], v[124:125], v[158:159]
	v_fma_f64 v[60:61], v[60:61], v[128:129], v[160:161]
	;; [unrolled: 1-line block ×4, first 2 shown]
	v_fma_f64 v[34:35], v[34:35], v[124:125], -v[126:127]
	v_fma_f64 v[62:63], v[62:63], v[128:129], -v[130:131]
	v_fma_f64 v[4:5], v[4:5], v[100:101], v[102:103]
	v_fma_f64 v[36:37], v[36:37], v[104:105], v[106:107]
	v_fma_f64 v[22:23], v[22:23], v[108:109], -v[110:111]
	v_fma_f64 v[54:55], v[54:55], v[112:113], -v[114:115]
	;; [unrolled: 1-line block ×4, first 2 shown]
	v_fma_f64 v[24:25], v[24:25], v[88:89], v[90:91]
	v_add_f64_e64 v[50:51], v[10:11], -v[50:51]
	v_add_f64_e64 v[56:57], v[28:29], -v[56:57]
	;; [unrolled: 1-line block ×16, first 2 shown]
	v_fma_f64 v[10:11], v[10:11], 2.0, -v[50:51]
	v_add_f64_e64 v[74:75], v[50:51], -v[56:57]
	v_fma_f64 v[2:3], v[2:3], 2.0, -v[26:27]
	v_fma_f64 v[28:29], v[28:29], 2.0, -v[56:57]
	v_add_f64_e64 v[72:73], v[26:27], -v[40:41]
	v_fma_f64 v[16:17], v[16:17], 2.0, -v[40:41]
	v_fma_f64 v[8:9], v[8:9], 2.0, -v[48:49]
	v_add_f64_e32 v[76:77], v[48:49], v[58:59]
	v_fma_f64 v[30:31], v[30:31], 2.0, -v[58:59]
	v_fma_f64 v[6:7], v[6:7], 2.0, -v[38:39]
	v_add_f64_e64 v[78:79], v[38:39], -v[52:53]
	v_fma_f64 v[20:21], v[20:21], 2.0, -v[52:53]
	v_fma_f64 v[14:15], v[14:15], 2.0, -v[46:47]
	v_add_f64_e64 v[80:81], v[46:47], -v[60:61]
	v_fma_f64 v[32:33], v[32:33], 2.0, -v[60:61]
	v_fma_f64 v[12:13], v[12:13], 2.0, -v[44:45]
	v_add_f64_e32 v[82:83], v[44:45], v[62:63]
	v_fma_f64 v[34:35], v[34:35], 2.0, -v[62:63]
	v_fma_f64 v[4:5], v[4:5], 2.0, -v[36:37]
	v_add_f64_e32 v[84:85], v[36:37], v[54:55]
	;; [unrolled: 3-line block ×3, first 2 shown]
	v_fma_f64 v[0:1], v[0:1], 2.0, -v[24:25]
	v_fma_f64 v[40:41], v[50:51], 2.0, -v[74:75]
	;; [unrolled: 1-line block ×3, first 2 shown]
	v_add_f64_e64 v[28:29], v[8:9], -v[28:29]
	v_fma_f64 v[42:43], v[48:49], 2.0, -v[76:77]
	v_fma_f64 v[48:49], v[74:75], s[0:1], v[72:73]
	v_add_f64_e64 v[30:31], v[10:11], -v[30:31]
	v_fma_f64 v[38:39], v[38:39], 2.0, -v[78:79]
	v_fma_f64 v[46:47], v[46:47], 2.0, -v[80:81]
	v_fma_f64 v[50:51], v[80:81], s[0:1], v[78:79]
	v_add_f64_e64 v[32:33], v[12:13], -v[32:33]
	v_fma_f64 v[44:45], v[44:45], 2.0, -v[82:83]
	v_add_f64_e64 v[34:35], v[14:15], -v[34:35]
	v_add_f64_e64 v[20:21], v[4:5], -v[20:21]
	v_fma_f64 v[36:37], v[36:37], 2.0, -v[84:85]
	v_fma_f64 v[52:53], v[82:83], s[0:1], v[84:85]
	v_add_f64_e64 v[18:19], v[2:3], -v[18:19]
	v_fma_f64 v[24:25], v[24:25], 2.0, -v[86:87]
	v_fma_f64 v[54:55], v[76:77], s[0:1], v[86:87]
	v_add_f64_e64 v[22:23], v[6:7], -v[22:23]
	v_add_f64_e64 v[16:17], v[0:1], -v[16:17]
	v_fma_f64 v[56:57], v[40:41], s[4:5], v[26:27]
	v_fma_f64 v[8:9], v[8:9], 2.0, -v[28:29]
	v_fma_f64 v[48:49], v[76:77], s[4:5], v[48:49]
	v_fma_f64 v[10:11], v[10:11], 2.0, -v[30:31]
	v_fma_f64 v[58:59], v[46:47], s[4:5], v[38:39]
	v_fma_f64 v[50:51], v[82:83], s[4:5], v[50:51]
	v_fma_f64 v[12:13], v[12:13], 2.0, -v[32:33]
	v_fma_f64 v[14:15], v[14:15], 2.0, -v[34:35]
	v_add_f64_e32 v[76:77], v[20:21], v[34:35]
	v_fma_f64 v[4:5], v[4:5], 2.0, -v[20:21]
	v_fma_f64 v[60:61], v[44:45], s[4:5], v[36:37]
	v_fma_f64 v[52:53], v[80:81], s[0:1], v[52:53]
	v_fma_f64 v[2:3], v[2:3], 2.0, -v[18:19]
	v_fma_f64 v[62:63], v[42:43], s[4:5], v[24:25]
	v_fma_f64 v[54:55], v[74:75], s[0:1], v[54:55]
	v_add_f64_e64 v[74:75], v[18:19], -v[28:29]
	v_add_f64_e64 v[32:33], v[22:23], -v[32:33]
	v_add_f64_e32 v[80:81], v[16:17], v[30:31]
	v_fma_f64 v[0:1], v[0:1], 2.0, -v[16:17]
	v_fma_f64 v[6:7], v[6:7], 2.0, -v[22:23]
	v_fma_f64 v[56:57], v[42:43], s[4:5], v[56:57]
	v_fma_f64 v[28:29], v[44:45], s[4:5], v[58:59]
	v_fma_f64 v[44:45], v[72:73], 2.0, -v[48:49]
	v_fma_f64 v[30:31], v[46:47], s[0:1], v[60:61]
	v_fma_f64 v[34:35], v[84:85], 2.0, -v[52:53]
	v_fma_f64 v[58:59], v[40:41], s[0:1], v[62:63]
	v_add_f64_e64 v[40:41], v[2:3], -v[10:11]
	v_fma_f64 v[60:61], v[18:19], 2.0, -v[74:75]
	v_fma_f64 v[22:23], v[22:23], 2.0, -v[32:33]
	;; [unrolled: 1-line block ×4, first 2 shown]
	v_add_f64_e64 v[10:11], v[4:5], -v[12:13]
	v_fma_f64 v[12:13], v[78:79], 2.0, -v[50:51]
	v_fma_f64 v[72:73], v[86:87], 2.0, -v[54:55]
	v_add_f64_e64 v[46:47], v[0:1], -v[8:9]
	v_add_f64_e64 v[8:9], v[6:7], -v[14:15]
	v_fma_f64 v[16:17], v[32:33], s[0:1], v[74:75]
	v_fma_f64 v[20:21], v[76:77], s[0:1], v[80:81]
	;; [unrolled: 1-line block ×3, first 2 shown]
	v_fma_f64 v[78:79], v[26:27], 2.0, -v[56:57]
	v_fma_f64 v[38:39], v[38:39], 2.0, -v[28:29]
	v_fma_f64 v[26:27], v[28:29], s[16:17], v[56:57]
	v_fma_f64 v[36:37], v[36:37], 2.0, -v[30:31]
	v_fma_f64 v[82:83], v[24:25], 2.0, -v[58:59]
	v_fma_f64 v[24:25], v[52:53], s[12:13], v[54:55]
	v_fma_f64 v[42:43], v[30:31], s[16:17], v[58:59]
	v_fma_f64 v[86:87], v[22:23], s[4:5], v[60:61]
	v_fma_f64 v[92:93], v[2:3], 2.0, -v[40:41]
	v_fma_f64 v[88:89], v[18:19], s[4:5], v[62:63]
	v_fma_f64 v[98:99], v[4:5], 2.0, -v[10:11]
	v_fma_f64 v[84:85], v[12:13], s[14:15], v[44:45]
	v_fma_f64 v[90:91], v[34:35], s[14:15], v[72:73]
	v_fma_f64 v[96:97], v[0:1], 2.0, -v[46:47]
	v_fma_f64 v[94:95], v[6:7], 2.0, -v[8:9]
	v_fma_f64 v[6:7], v[76:77], s[4:5], v[16:17]
	v_fma_f64 v[4:5], v[32:33], s[0:1], v[20:21]
	;; [unrolled: 1-line block ×3, first 2 shown]
	v_add_f64_e64 v[10:11], v[40:41], -v[10:11]
	v_add_f64_e32 v[8:9], v[46:47], v[8:9]
	s_wait_alu 0xfffe
	v_fma_f64 v[100:101], v[38:39], s[18:19], v[78:79]
	v_fma_f64 v[102:103], v[36:37], s[18:19], v[82:83]
	;; [unrolled: 1-line block ×9, first 2 shown]
	v_add_f64_e64 v[24:25], v[96:97], -v[98:99]
	v_add_f64_e64 v[26:27], v[92:93], -v[94:95]
	v_fma_f64 v[34:35], v[48:49], 2.0, -v[2:3]
	v_fma_f64 v[42:43], v[40:41], 2.0, -v[10:11]
	;; [unrolled: 1-line block ×3, first 2 shown]
	v_fma_f64 v[30:31], v[36:37], s[14:15], v[100:101]
	v_fma_f64 v[36:37], v[80:81], 2.0, -v[4:5]
	v_fma_f64 v[28:29], v[38:39], s[16:17], v[102:103]
	v_fma_f64 v[38:39], v[74:75], 2.0, -v[6:7]
	v_fma_f64 v[32:33], v[54:55], 2.0, -v[0:1]
	;; [unrolled: 1-line block ×12, first 2 shown]
	ds_store_b128 v69, v[36:39] offset:1248
	ds_store_b128 v69, v[32:35] offset:1456
	;; [unrolled: 1-line block ×12, first 2 shown]
	ds_store_b128 v69, v[56:59]
	ds_store_b128 v69, v[60:63] offset:208
	ds_store_b128 v69, v[4:7] offset:2912
	;; [unrolled: 1-line block ×3, first 2 shown]
.LBB0_19:
	s_wait_alu 0xfffe
	s_or_b32 exec_lo, exec_lo, s10
	v_dual_mov_b32 v4, 0 :: v_dual_lshlrev_b32 v3, 2, v68
	s_load_b64 s[2:3], s[2:3], 0x0
	global_wb scope:SCOPE_SE
	s_wait_dscnt 0x0
	s_wait_kmcnt 0x0
	s_barrier_signal -1
	s_barrier_wait -1
	v_lshlrev_b64_e32 v[0:1], 4, v[3:4]
	global_inv scope:SCOPE_SE
	s_mov_b32 s5, 0x3fee6f0e
	v_add_co_u32 v13, s0, s8, v0
	s_wait_alu 0xf1ff
	v_add_co_ci_u32_e64 v14, s0, s9, v1, s0
	s_mov_b32 s0, 0x134454ff
	s_mov_b32 s1, 0xbfee6f0e
	s_clause 0x3
	global_load_b128 v[0:3], v[13:14], off offset:3120
	global_load_b128 v[5:8], v[13:14], off offset:3136
	;; [unrolled: 1-line block ×4, first 2 shown]
	ds_load_b128 v[17:20], v70 offset:3328
	ds_load_b128 v[21:24], v70 offset:6656
	;; [unrolled: 1-line block ×4, first 2 shown]
	s_wait_alu 0xfffe
	s_mov_b32 s4, s0
	s_wait_loadcnt_dscnt 0x303
	v_mul_f64_e32 v[33:34], v[19:20], v[2:3]
	s_wait_loadcnt_dscnt 0x202
	v_mul_f64_e32 v[35:36], v[23:24], v[7:8]
	;; [unrolled: 2-line block ×4, first 2 shown]
	v_mul_f64_e32 v[7:8], v[21:22], v[7:8]
	v_mul_f64_e32 v[11:12], v[25:26], v[11:12]
	;; [unrolled: 1-line block ×4, first 2 shown]
	v_fma_f64 v[17:18], v[17:18], v[0:1], v[33:34]
	v_fma_f64 v[21:22], v[21:22], v[5:6], v[35:36]
	;; [unrolled: 1-line block ×4, first 2 shown]
	v_fma_f64 v[5:6], v[23:24], v[5:6], -v[7:8]
	v_fma_f64 v[7:8], v[27:28], v[9:10], -v[11:12]
	;; [unrolled: 1-line block ×4, first 2 shown]
	ds_load_b128 v[0:3], v70
	global_wb scope:SCOPE_SE
	s_wait_dscnt 0x0
	s_barrier_signal -1
	s_barrier_wait -1
	global_inv scope:SCOPE_SE
	v_add_f64_e32 v[27:28], v[0:1], v[17:18]
	v_add_f64_e32 v[11:12], v[21:22], v[25:26]
	;; [unrolled: 1-line block ×3, first 2 shown]
	v_add_f64_e64 v[37:38], v[17:18], -v[29:30]
	v_add_f64_e32 v[15:16], v[5:6], v[7:8]
	v_add_f64_e32 v[35:36], v[2:3], v[19:20]
	;; [unrolled: 1-line block ×3, first 2 shown]
	v_add_f64_e64 v[31:32], v[19:20], -v[9:10]
	v_add_f64_e64 v[33:34], v[5:6], -v[7:8]
	;; [unrolled: 1-line block ×8, first 2 shown]
	v_fma_f64 v[11:12], v[11:12], -0.5, v[0:1]
	v_fma_f64 v[0:1], v[13:14], -0.5, v[0:1]
	v_add_f64_e64 v[13:14], v[21:22], -v[25:26]
	v_fma_f64 v[15:16], v[15:16], -0.5, v[2:3]
	v_add_f64_e32 v[5:6], v[35:36], v[5:6]
	v_fma_f64 v[2:3], v[23:24], -0.5, v[2:3]
	v_add_f64_e64 v[23:24], v[17:18], -v[21:22]
	v_add_f64_e64 v[17:18], v[21:22], -v[17:18]
	v_add_f64_e32 v[21:22], v[27:28], v[21:22]
	v_add_f64_e32 v[19:20], v[19:20], v[47:48]
	v_fma_f64 v[27:28], v[31:32], s[0:1], v[11:12]
	s_wait_alu 0xfffe
	v_fma_f64 v[35:36], v[33:34], s[4:5], v[0:1]
	v_fma_f64 v[0:1], v[33:34], s[0:1], v[0:1]
	;; [unrolled: 1-line block ×7, first 2 shown]
	s_mov_b32 s0, 0x4755a5e
	s_mov_b32 s1, 0xbfe2cf23
	;; [unrolled: 1-line block ×3, first 2 shown]
	s_wait_alu 0xfffe
	s_mov_b32 s4, s0
	v_add_f64_e32 v[21:22], v[21:22], v[25:26]
	v_add_f64_e32 v[5:6], v[5:6], v[7:8]
	;; [unrolled: 1-line block ×5, first 2 shown]
	v_fma_f64 v[7:8], v[33:34], s[0:1], v[27:28]
	v_fma_f64 v[25:26], v[31:32], s[0:1], v[35:36]
	s_wait_alu 0xfffe
	v_fma_f64 v[27:28], v[31:32], s[4:5], v[0:1]
	v_fma_f64 v[31:32], v[13:14], s[4:5], v[49:50]
	;; [unrolled: 1-line block ×6, first 2 shown]
	s_mov_b32 s0, 0x372fe950
	s_mov_b32 s1, 0x3fd3c6ef
	v_add_f64_e32 v[0:1], v[21:22], v[29:30]
	v_add_f64_e32 v[2:3], v[5:6], v[9:10]
	s_wait_alu 0xfffe
	v_fma_f64 v[5:6], v[23:24], s[0:1], v[7:8]
	v_fma_f64 v[13:14], v[17:18], s[0:1], v[25:26]
	;; [unrolled: 1-line block ×8, first 2 shown]
	s_mov_b32 s1, exec_lo
	ds_store_b128 v70, v[0:3]
	ds_store_b128 v70, v[5:8] offset:3328
	ds_store_b128 v70, v[13:16] offset:6656
	;; [unrolled: 1-line block ×4, first 2 shown]
	global_wb scope:SCOPE_SE
	s_wait_dscnt 0x0
	s_barrier_signal -1
	s_barrier_wait -1
	global_inv scope:SCOPE_SE
	ds_load_b128 v[0:3], v70
	v_lshlrev_b32_e32 v5, 4, v68
                                        ; implicit-def: $vgpr7_vgpr8
                                        ; implicit-def: $vgpr9_vgpr10
	s_delay_alu instid0(VALU_DEP_1)
	v_sub_nc_u32_e32 v11, 0, v5
                                        ; implicit-def: $vgpr5_vgpr6
	v_cmpx_ne_u32_e32 0, v68
	s_wait_alu 0xfffe
	s_xor_b32 s1, exec_lo, s1
	s_cbranch_execz .LBB0_21
; %bb.20:
	v_mov_b32_e32 v69, v4
	ds_load_b128 v[12:15], v11 offset:16640
	v_lshlrev_b64_e32 v[4:5], 4, v[68:69]
	s_delay_alu instid0(VALU_DEP_1) | instskip(SKIP_1) | instid1(VALU_DEP_2)
	v_add_co_u32 v4, s0, s8, v4
	s_wait_alu 0xf1ff
	v_add_co_ci_u32_e64 v5, s0, s9, v5, s0
	global_load_b128 v[7:10], v[4:5], off offset:16432
	s_wait_dscnt 0x0
	v_add_f64_e64 v[4:5], v[0:1], -v[12:13]
	v_add_f64_e32 v[16:17], v[2:3], v[14:15]
	v_add_f64_e64 v[2:3], v[2:3], -v[14:15]
	v_add_f64_e32 v[0:1], v[0:1], v[12:13]
	s_delay_alu instid0(VALU_DEP_4) | instskip(NEXT) | instid1(VALU_DEP_4)
	v_mul_f64_e32 v[4:5], 0.5, v[4:5]
	v_mul_f64_e32 v[14:15], 0.5, v[16:17]
	s_delay_alu instid0(VALU_DEP_4) | instskip(SKIP_1) | instid1(VALU_DEP_3)
	v_mul_f64_e32 v[2:3], 0.5, v[2:3]
	s_wait_loadcnt 0x0
	v_mul_f64_e32 v[12:13], v[4:5], v[9:10]
	s_delay_alu instid0(VALU_DEP_2) | instskip(SKIP_1) | instid1(VALU_DEP_3)
	v_fma_f64 v[16:17], v[14:15], v[9:10], v[2:3]
	v_fma_f64 v[2:3], v[14:15], v[9:10], -v[2:3]
	v_fma_f64 v[9:10], v[0:1], 0.5, v[12:13]
	v_fma_f64 v[0:1], v[0:1], 0.5, -v[12:13]
	s_delay_alu instid0(VALU_DEP_4) | instskip(NEXT) | instid1(VALU_DEP_4)
	v_fma_f64 v[12:13], -v[7:8], v[4:5], v[16:17]
	v_fma_f64 v[2:3], -v[7:8], v[4:5], v[2:3]
	ds_store_b64 v70, v[12:13] offset:8
	ds_store_b64 v11, v[2:3] offset:16648
	v_fma_f64 v[5:6], v[14:15], v[7:8], v[9:10]
	v_fma_f64 v[7:8], -v[14:15], v[7:8], v[0:1]
	v_dual_mov_b32 v9, v68 :: v_dual_mov_b32 v10, v69
                                        ; implicit-def: $vgpr0_vgpr1
.LBB0_21:
	s_wait_alu 0xfffe
	s_and_not1_saveexec_b32 s0, s1
	s_cbranch_execz .LBB0_23
; %bb.22:
	s_wait_dscnt 0x0
	v_add_f64_e32 v[5:6], v[0:1], v[2:3]
	v_add_f64_e64 v[7:8], v[0:1], -v[2:3]
	s_mov_b32 s4, 0
	v_dual_mov_b32 v2, 0 :: v_dual_mov_b32 v9, 0
	s_wait_alu 0xfffe
	s_mov_b32 s5, s4
	s_wait_alu 0xfffe
	v_dual_mov_b32 v0, s4 :: v_dual_mov_b32 v1, s5
	v_mov_b32_e32 v10, 0
	ds_store_b64 v70, v[0:1] offset:8
	ds_store_b64 v11, v[0:1] offset:16648
	ds_load_b64 v[0:1], v2 offset:8328
	s_wait_dscnt 0x0
	v_xor_b32_e32 v1, 0x80000000, v1
	ds_store_b64 v2, v[0:1] offset:8328
.LBB0_23:
	s_wait_alu 0xfffe
	s_or_b32 exec_lo, exec_lo, s0
	s_wait_dscnt 0x0
	v_lshlrev_b64_e32 v[0:1], 4, v[9:10]
	s_add_nc_u64 s[0:1], s[8:9], 0x4030
	s_wait_alu 0xfffe
	s_delay_alu instid0(VALU_DEP_1) | instskip(SKIP_1) | instid1(VALU_DEP_2)
	v_add_co_u32 v0, s0, s0, v0
	s_wait_alu 0xf1ff
	v_add_co_ci_u32_e64 v1, s0, s1, v1, s0
	s_mov_b32 s1, exec_lo
	global_load_b128 v[12:15], v[0:1], off offset:3328
	ds_store_b64 v70, v[5:6]
	ds_store_b64 v11, v[7:8] offset:16640
	ds_load_b128 v[2:5], v70 offset:3328
	ds_load_b128 v[6:9], v11 offset:13312
	s_wait_dscnt 0x0
	v_add_f64_e64 v[16:17], v[2:3], -v[6:7]
	v_add_f64_e32 v[18:19], v[4:5], v[8:9]
	v_add_f64_e64 v[4:5], v[4:5], -v[8:9]
	v_add_f64_e32 v[2:3], v[2:3], v[6:7]
	s_delay_alu instid0(VALU_DEP_4) | instskip(NEXT) | instid1(VALU_DEP_4)
	v_mul_f64_e32 v[8:9], 0.5, v[16:17]
	v_mul_f64_e32 v[16:17], 0.5, v[18:19]
	s_delay_alu instid0(VALU_DEP_4) | instskip(SKIP_1) | instid1(VALU_DEP_3)
	v_mul_f64_e32 v[4:5], 0.5, v[4:5]
	s_wait_loadcnt 0x0
	v_mul_f64_e32 v[6:7], v[8:9], v[14:15]
	s_delay_alu instid0(VALU_DEP_2) | instskip(SKIP_1) | instid1(VALU_DEP_3)
	v_fma_f64 v[18:19], v[16:17], v[14:15], v[4:5]
	v_fma_f64 v[14:15], v[16:17], v[14:15], -v[4:5]
	v_fma_f64 v[20:21], v[2:3], 0.5, v[6:7]
	v_fma_f64 v[6:7], v[2:3], 0.5, -v[6:7]
	s_delay_alu instid0(VALU_DEP_4) | instskip(NEXT) | instid1(VALU_DEP_4)
	v_fma_f64 v[4:5], -v[12:13], v[8:9], v[18:19]
	v_fma_f64 v[8:9], -v[12:13], v[8:9], v[14:15]
	s_delay_alu instid0(VALU_DEP_4) | instskip(NEXT) | instid1(VALU_DEP_4)
	v_fma_f64 v[2:3], v[16:17], v[12:13], v[20:21]
	v_fma_f64 v[6:7], -v[16:17], v[12:13], v[6:7]
	ds_store_b128 v70, v[2:5] offset:3328
	ds_store_b128 v11, v[6:9] offset:13312
	v_cmpx_gt_u32_e32 0x68, v68
	s_cbranch_execz .LBB0_25
; %bb.24:
	global_load_b128 v[0:3], v[0:1], off offset:6656
	ds_load_b128 v[4:7], v70 offset:6656
	ds_load_b128 v[12:15], v11 offset:9984
	s_wait_dscnt 0x0
	v_add_f64_e64 v[8:9], v[4:5], -v[12:13]
	v_add_f64_e32 v[16:17], v[6:7], v[14:15]
	v_add_f64_e64 v[6:7], v[6:7], -v[14:15]
	v_add_f64_e32 v[4:5], v[4:5], v[12:13]
	s_delay_alu instid0(VALU_DEP_4) | instskip(NEXT) | instid1(VALU_DEP_4)
	v_mul_f64_e32 v[8:9], 0.5, v[8:9]
	v_mul_f64_e32 v[14:15], 0.5, v[16:17]
	s_delay_alu instid0(VALU_DEP_4) | instskip(SKIP_1) | instid1(VALU_DEP_3)
	v_mul_f64_e32 v[6:7], 0.5, v[6:7]
	s_wait_loadcnt 0x0
	v_mul_f64_e32 v[12:13], v[8:9], v[2:3]
	s_delay_alu instid0(VALU_DEP_2) | instskip(SKIP_1) | instid1(VALU_DEP_3)
	v_fma_f64 v[16:17], v[14:15], v[2:3], v[6:7]
	v_fma_f64 v[2:3], v[14:15], v[2:3], -v[6:7]
	v_fma_f64 v[6:7], v[4:5], 0.5, v[12:13]
	v_fma_f64 v[12:13], v[4:5], 0.5, -v[12:13]
	s_delay_alu instid0(VALU_DEP_4) | instskip(NEXT) | instid1(VALU_DEP_4)
	v_fma_f64 v[4:5], -v[0:1], v[8:9], v[16:17]
	v_fma_f64 v[8:9], -v[0:1], v[8:9], v[2:3]
	s_delay_alu instid0(VALU_DEP_4) | instskip(NEXT) | instid1(VALU_DEP_4)
	v_fma_f64 v[2:3], v[14:15], v[0:1], v[6:7]
	v_fma_f64 v[6:7], -v[14:15], v[0:1], v[12:13]
	ds_store_b128 v70, v[2:5] offset:6656
	ds_store_b128 v11, v[6:9] offset:9984
.LBB0_25:
	s_wait_alu 0xfffe
	s_or_b32 exec_lo, exec_lo, s1
	global_wb scope:SCOPE_SE
	s_wait_dscnt 0x0
	s_barrier_signal -1
	s_barrier_wait -1
	global_inv scope:SCOPE_SE
	s_and_saveexec_b32 s0, vcc_lo
	s_cbranch_execz .LBB0_28
; %bb.26:
	v_mul_lo_u32 v2, s3, v66
	v_mul_lo_u32 v3, s2, v67
	v_mad_co_u64_u32 v[0:1], null, s2, v66, 0
	v_dual_mov_b32 v69, 0 :: v_dual_add_nc_u32 v12, 0xd0, v68
	v_lshlrev_b64_e32 v[10:11], 4, v[64:65]
	v_add_nc_u32_e32 v14, 0x1a0, v68
	v_lshl_add_u32 v20, v68, 4, 0
	s_delay_alu instid0(VALU_DEP_4) | instskip(SKIP_4) | instid1(VALU_DEP_4)
	v_mov_b32_e32 v13, v69
	v_add3_u32 v1, v1, v3, v2
	v_lshlrev_b64_e32 v[16:17], 4, v[68:69]
	v_dual_mov_b32 v15, v69 :: v_dual_add_nc_u32 v18, 0x270, v68
	v_dual_mov_b32 v19, v69 :: v_dual_add_nc_u32 v30, 0x340, v68
	v_lshlrev_b64_e32 v[0:1], 4, v[0:1]
	ds_load_b128 v[2:5], v20
	ds_load_b128 v[6:9], v20 offset:3328
	v_lshlrev_b64_e32 v[26:27], 4, v[14:15]
	v_mov_b32_e32 v31, v69
	v_lshlrev_b64_e32 v[28:29], 4, v[18:19]
	v_add_co_u32 v0, vcc_lo, s6, v0
	s_wait_alu 0xfffd
	v_add_co_ci_u32_e32 v1, vcc_lo, s7, v1, vcc_lo
	v_lshlrev_b64_e32 v[30:31], 4, v[30:31]
	s_delay_alu instid0(VALU_DEP_3) | instskip(SKIP_1) | instid1(VALU_DEP_3)
	v_add_co_u32 v0, vcc_lo, v0, v10
	s_wait_alu 0xfffd
	v_add_co_ci_u32_e32 v1, vcc_lo, v1, v11, vcc_lo
	v_lshlrev_b64_e32 v[10:11], 4, v[12:13]
	s_delay_alu instid0(VALU_DEP_3) | instskip(SKIP_1) | instid1(VALU_DEP_3)
	v_add_co_u32 v22, vcc_lo, v0, v16
	s_wait_alu 0xfffd
	v_add_co_ci_u32_e32 v23, vcc_lo, v1, v17, vcc_lo
	s_delay_alu instid0(VALU_DEP_3)
	v_add_co_u32 v24, vcc_lo, v0, v10
	s_wait_alu 0xfffd
	v_add_co_ci_u32_e32 v25, vcc_lo, v1, v11, vcc_lo
	ds_load_b128 v[10:13], v20 offset:6656
	ds_load_b128 v[14:17], v20 offset:9984
	;; [unrolled: 1-line block ×3, first 2 shown]
	v_add_co_u32 v26, vcc_lo, v0, v26
	s_wait_alu 0xfffd
	v_add_co_ci_u32_e32 v27, vcc_lo, v1, v27, vcc_lo
	v_add_co_u32 v28, vcc_lo, v0, v28
	s_wait_alu 0xfffd
	v_add_co_ci_u32_e32 v29, vcc_lo, v1, v29, vcc_lo
	;; [unrolled: 3-line block ×3, first 2 shown]
	v_cmp_eq_u32_e32 vcc_lo, 0xcf, v68
	s_wait_dscnt 0x4
	global_store_b128 v[22:23], v[2:5], off
	s_wait_dscnt 0x3
	global_store_b128 v[24:25], v[6:9], off
	;; [unrolled: 2-line block ×5, first 2 shown]
	s_and_b32 exec_lo, exec_lo, vcc_lo
	s_cbranch_execz .LBB0_28
; %bb.27:
	ds_load_b128 v[2:5], v69 offset:16640
	s_wait_dscnt 0x0
	global_store_b128 v[0:1], v[2:5], off offset:16640
.LBB0_28:
	s_nop 0
	s_sendmsg sendmsg(MSG_DEALLOC_VGPRS)
	s_endpgm
	.section	.rodata,"a",@progbits
	.p2align	6, 0x0
	.amdhsa_kernel fft_rtc_back_len1040_factors_13_16_5_wgs_208_tpt_208_halfLds_dp_op_CI_CI_unitstride_sbrr_R2C_dirReg
		.amdhsa_group_segment_fixed_size 0
		.amdhsa_private_segment_fixed_size 12
		.amdhsa_kernarg_size 104
		.amdhsa_user_sgpr_count 2
		.amdhsa_user_sgpr_dispatch_ptr 0
		.amdhsa_user_sgpr_queue_ptr 0
		.amdhsa_user_sgpr_kernarg_segment_ptr 1
		.amdhsa_user_sgpr_dispatch_id 0
		.amdhsa_user_sgpr_private_segment_size 0
		.amdhsa_wavefront_size32 1
		.amdhsa_uses_dynamic_stack 0
		.amdhsa_enable_private_segment 1
		.amdhsa_system_sgpr_workgroup_id_x 1
		.amdhsa_system_sgpr_workgroup_id_y 0
		.amdhsa_system_sgpr_workgroup_id_z 0
		.amdhsa_system_sgpr_workgroup_info 0
		.amdhsa_system_vgpr_workitem_id 0
		.amdhsa_next_free_vgpr 255
		.amdhsa_next_free_sgpr 46
		.amdhsa_reserve_vcc 1
		.amdhsa_float_round_mode_32 0
		.amdhsa_float_round_mode_16_64 0
		.amdhsa_float_denorm_mode_32 3
		.amdhsa_float_denorm_mode_16_64 3
		.amdhsa_fp16_overflow 0
		.amdhsa_workgroup_processor_mode 1
		.amdhsa_memory_ordered 1
		.amdhsa_forward_progress 0
		.amdhsa_round_robin_scheduling 0
		.amdhsa_exception_fp_ieee_invalid_op 0
		.amdhsa_exception_fp_denorm_src 0
		.amdhsa_exception_fp_ieee_div_zero 0
		.amdhsa_exception_fp_ieee_overflow 0
		.amdhsa_exception_fp_ieee_underflow 0
		.amdhsa_exception_fp_ieee_inexact 0
		.amdhsa_exception_int_div_zero 0
	.end_amdhsa_kernel
	.text
.Lfunc_end0:
	.size	fft_rtc_back_len1040_factors_13_16_5_wgs_208_tpt_208_halfLds_dp_op_CI_CI_unitstride_sbrr_R2C_dirReg, .Lfunc_end0-fft_rtc_back_len1040_factors_13_16_5_wgs_208_tpt_208_halfLds_dp_op_CI_CI_unitstride_sbrr_R2C_dirReg
                                        ; -- End function
	.section	.AMDGPU.csdata,"",@progbits
; Kernel info:
; codeLenInByte = 8992
; NumSgprs: 48
; NumVgprs: 255
; ScratchSize: 12
; MemoryBound: 0
; FloatMode: 240
; IeeeMode: 1
; LDSByteSize: 0 bytes/workgroup (compile time only)
; SGPRBlocks: 5
; VGPRBlocks: 31
; NumSGPRsForWavesPerEU: 48
; NumVGPRsForWavesPerEU: 255
; Occupancy: 5
; WaveLimiterHint : 1
; COMPUTE_PGM_RSRC2:SCRATCH_EN: 1
; COMPUTE_PGM_RSRC2:USER_SGPR: 2
; COMPUTE_PGM_RSRC2:TRAP_HANDLER: 0
; COMPUTE_PGM_RSRC2:TGID_X_EN: 1
; COMPUTE_PGM_RSRC2:TGID_Y_EN: 0
; COMPUTE_PGM_RSRC2:TGID_Z_EN: 0
; COMPUTE_PGM_RSRC2:TIDIG_COMP_CNT: 0
	.text
	.p2alignl 7, 3214868480
	.fill 96, 4, 3214868480
	.type	__hip_cuid_b25dd4e979a5848f,@object ; @__hip_cuid_b25dd4e979a5848f
	.section	.bss,"aw",@nobits
	.globl	__hip_cuid_b25dd4e979a5848f
__hip_cuid_b25dd4e979a5848f:
	.byte	0                               ; 0x0
	.size	__hip_cuid_b25dd4e979a5848f, 1

	.ident	"AMD clang version 19.0.0git (https://github.com/RadeonOpenCompute/llvm-project roc-6.4.0 25133 c7fe45cf4b819c5991fe208aaa96edf142730f1d)"
	.section	".note.GNU-stack","",@progbits
	.addrsig
	.addrsig_sym __hip_cuid_b25dd4e979a5848f
	.amdgpu_metadata
---
amdhsa.kernels:
  - .args:
      - .actual_access:  read_only
        .address_space:  global
        .offset:         0
        .size:           8
        .value_kind:     global_buffer
      - .offset:         8
        .size:           8
        .value_kind:     by_value
      - .actual_access:  read_only
        .address_space:  global
        .offset:         16
        .size:           8
        .value_kind:     global_buffer
      - .actual_access:  read_only
        .address_space:  global
        .offset:         24
        .size:           8
        .value_kind:     global_buffer
      - .actual_access:  read_only
        .address_space:  global
        .offset:         32
        .size:           8
        .value_kind:     global_buffer
      - .offset:         40
        .size:           8
        .value_kind:     by_value
      - .actual_access:  read_only
        .address_space:  global
        .offset:         48
        .size:           8
        .value_kind:     global_buffer
      - .actual_access:  read_only
        .address_space:  global
        .offset:         56
        .size:           8
        .value_kind:     global_buffer
      - .offset:         64
        .size:           4
        .value_kind:     by_value
      - .actual_access:  read_only
        .address_space:  global
        .offset:         72
        .size:           8
        .value_kind:     global_buffer
      - .actual_access:  read_only
        .address_space:  global
        .offset:         80
        .size:           8
        .value_kind:     global_buffer
      - .actual_access:  read_only
        .address_space:  global
        .offset:         88
        .size:           8
        .value_kind:     global_buffer
      - .actual_access:  write_only
        .address_space:  global
        .offset:         96
        .size:           8
        .value_kind:     global_buffer
    .group_segment_fixed_size: 0
    .kernarg_segment_align: 8
    .kernarg_segment_size: 104
    .language:       OpenCL C
    .language_version:
      - 2
      - 0
    .max_flat_workgroup_size: 208
    .name:           fft_rtc_back_len1040_factors_13_16_5_wgs_208_tpt_208_halfLds_dp_op_CI_CI_unitstride_sbrr_R2C_dirReg
    .private_segment_fixed_size: 12
    .sgpr_count:     48
    .sgpr_spill_count: 0
    .symbol:         fft_rtc_back_len1040_factors_13_16_5_wgs_208_tpt_208_halfLds_dp_op_CI_CI_unitstride_sbrr_R2C_dirReg.kd
    .uniform_work_group_size: 1
    .uses_dynamic_stack: false
    .vgpr_count:     255
    .vgpr_spill_count: 2
    .wavefront_size: 32
    .workgroup_processor_mode: 1
amdhsa.target:   amdgcn-amd-amdhsa--gfx1201
amdhsa.version:
  - 1
  - 2
...

	.end_amdgpu_metadata
